;; amdgpu-corpus repo=zjin-lcf/HeCBench kind=compiled arch=gfx1100 opt=O3
	.text
	.amdgcn_target "amdgcn-amd-amdhsa--gfx1100"
	.amdhsa_code_object_version 6
	.protected	_Z11toneMappingPKfPfffffjjj ; -- Begin function _Z11toneMappingPKfPfffffjjj
	.globl	_Z11toneMappingPKfPfffffjjj
	.p2align	8
	.type	_Z11toneMappingPKfPfffffjjj,@function
_Z11toneMappingPKfPfffffjjj:            ; @_Z11toneMappingPKfPfffffjjj
; %bb.0:
	s_clause 0x1
	s_load_b32 s2, s[0:1], 0x3c
	s_load_b128 s[4:7], s[0:1], 0x20
	v_bfe_u32 v1, v0, 10, 10
	v_dual_mov_b32 v7, 0 :: v_dual_and_b32 v0, 0x3ff, v0
	s_load_b256 s[16:23], s[0:1], 0x0
	s_delay_alu instid0(VALU_DEP_1)
	v_mov_b32_e32 v5, v7
	s_waitcnt lgkmcnt(0)
	s_lshr_b32 s3, s2, 16
	s_and_b32 s2, s2, 0xffff
	v_mad_u64_u32 v[8:9], null, s15, s3, v[1:2]
	v_mad_u64_u32 v[15:16], null, s14, s2, v[0:1]
	s_mul_i32 s8, s5, s4
	v_mov_b32_e32 v1, v7
	s_add_i32 s1, s4, -1
	s_add_i32 s2, s6, -1
	s_delay_alu instid0(VALU_DEP_3) | instskip(SKIP_1) | instid1(VALU_DEP_4)
	v_mul_lo_u32 v14, v8, s8
	v_cmp_ne_u32_e64 s0, 0, v8
	v_mul_lo_u32 v13, v15, s5
	v_cmp_ne_u32_e64 s1, s1, v15
	v_cmp_ne_u32_e64 s2, s2, v8
	s_delay_alu instid0(VALU_DEP_3) | instskip(NEXT) | instid1(VALU_DEP_1)
	v_add_nc_u32_e32 v6, v14, v13
	v_add_nc_u32_e32 v0, 1, v6
	v_lshlrev_b64 v[2:3], 2, v[6:7]
	v_add_nc_u32_e32 v4, 2, v6
	s_delay_alu instid0(VALU_DEP_3) | instskip(NEXT) | instid1(VALU_DEP_2)
	v_lshlrev_b64 v[0:1], 2, v[0:1]
	v_lshlrev_b64 v[4:5], 2, v[4:5]
	s_delay_alu instid0(VALU_DEP_2) | instskip(NEXT) | instid1(VALU_DEP_3)
	v_add_co_u32 v9, vcc_lo, s16, v0
	v_add_co_ci_u32_e32 v10, vcc_lo, s17, v1, vcc_lo
	v_add_co_u32 v11, vcc_lo, s16, v2
	v_add_co_ci_u32_e32 v12, vcc_lo, s17, v3, vcc_lo
	s_clause 0x1
	global_load_b32 v9, v[9:10], off
	global_load_b32 v11, v[11:12], off
	v_add_co_u32 v16, vcc_lo, s16, v4
	v_add_co_ci_u32_e32 v17, vcc_lo, s17, v5, vcc_lo
	v_cmp_ne_u32_e32 vcc_lo, 0, v15
	global_load_b32 v10, v[16:17], off
	s_and_b32 s0, vcc_lo, s0
	s_delay_alu instid0(SALU_CYCLE_1) | instskip(NEXT) | instid1(SALU_CYCLE_1)
	s_and_b32 s0, s1, s0
	s_and_b32 s1, s2, s0
	s_waitcnt vmcnt(2)
	v_mul_f32_e32 v12, 0x3f371759, v9
	s_waitcnt vmcnt(1)
	s_delay_alu instid0(VALU_DEP_1) | instskip(SKIP_1) | instid1(VALU_DEP_1)
	v_fmac_f32_e32 v12, 0x3e59b3d0, v11
	s_waitcnt vmcnt(0)
	v_fmac_f32_e32 v12, 0x3d93dd98, v10
	s_delay_alu instid0(VALU_DEP_1)
	v_mov_b32_e32 v15, v12
	s_and_saveexec_b32 s0, s1
	s_cbranch_execz .LBB0_2
; %bb.1:
	v_subrev_nc_u32_e32 v29, s8, v14
	v_subrev_nc_u32_e32 v37, s5, v13
	v_mov_b32_e32 v18, v7
	v_mov_b32_e32 v16, v7
	s_delay_alu instid0(VALU_DEP_4) | instskip(NEXT) | instid1(VALU_DEP_4)
	v_dual_mov_b32 v36, v7 :: v_dual_add_nc_u32 v21, v29, v13
	v_dual_mov_b32 v20, v7 :: v_dual_add_nc_u32 v15, v29, v37
	v_lshl_add_u32 v39, s5, 1, v37
	v_dual_mov_b32 v22, v7 :: v_dual_add_nc_u32 v35, v14, v37
	s_delay_alu instid0(VALU_DEP_3) | instskip(SKIP_3) | instid1(VALU_DEP_4)
	v_add_nc_u32_e32 v17, 1, v15
	v_add_nc_u32_e32 v19, 2, v15
	v_lshlrev_b64 v[15:16], 2, v[15:16]
	v_dual_mov_b32 v24, v7 :: v_dual_add_nc_u32 v23, 1, v21
	v_lshlrev_b64 v[17:18], 2, v[17:18]
	s_delay_alu instid0(VALU_DEP_4)
	v_lshlrev_b64 v[19:20], 2, v[19:20]
	v_lshlrev_b64 v[25:26], 2, v[21:22]
	v_add_co_u32 v15, vcc_lo, s16, v15
	v_add_co_ci_u32_e32 v16, vcc_lo, s17, v16, vcc_lo
	v_add_co_u32 v17, vcc_lo, s16, v17
	v_add_co_ci_u32_e32 v18, vcc_lo, s17, v18, vcc_lo
	v_add_co_u32 v19, vcc_lo, s16, v19
	v_dual_mov_b32 v28, v7 :: v_dual_add_nc_u32 v27, 2, v21
	v_add_co_ci_u32_e32 v20, vcc_lo, s17, v20, vcc_lo
	v_lshlrev_b64 v[22:23], 2, v[23:24]
	v_add_co_u32 v24, vcc_lo, s16, v25
	v_add_co_ci_u32_e32 v25, vcc_lo, s17, v26, vcc_lo
	v_lshlrev_b64 v[26:27], 2, v[27:28]
	v_dual_mov_b32 v29, v7 :: v_dual_add_nc_u32 v28, v29, v39
	v_mov_b32_e32 v32, v7
	v_add_co_u32 v21, vcc_lo, s16, v22
	s_delay_alu instid0(VALU_DEP_3) | instskip(NEXT) | instid1(VALU_DEP_4)
	v_add_nc_u32_e32 v31, 1, v28
	v_lshlrev_b64 v[29:30], 2, v[28:29]
	v_add_co_ci_u32_e32 v22, vcc_lo, s17, v23, vcc_lo
	v_add_co_u32 v26, vcc_lo, s16, v26
	s_delay_alu instid0(VALU_DEP_4)
	v_lshlrev_b64 v[31:32], 2, v[31:32]
	v_add_co_ci_u32_e32 v27, vcc_lo, s17, v27, vcc_lo
	v_dual_mov_b32 v34, v7 :: v_dual_add_nc_u32 v33, 2, v28
	v_add_co_u32 v29, vcc_lo, s16, v29
	v_add_co_ci_u32_e32 v30, vcc_lo, s17, v30, vcc_lo
	v_add_co_u32 v31, vcc_lo, s16, v31
	s_delay_alu instid0(VALU_DEP_4)
	v_lshlrev_b64 v[33:34], 2, v[33:34]
	v_add_co_ci_u32_e32 v32, vcc_lo, s17, v32, vcc_lo
	s_clause 0x7
	global_load_b32 v40, v[15:16], off
	global_load_b32 v41, v[17:18], off
	;; [unrolled: 1-line block ×8, first 2 shown]
	v_dual_mov_b32 v18, v7 :: v_dual_add_nc_u32 v17, 1, v35
	v_lshlrev_b64 v[15:16], 2, v[35:36]
	v_dual_mov_b32 v22, v7 :: v_dual_add_nc_u32 v21, 2, v35
	v_dual_mov_b32 v24, v7 :: v_dual_add_nc_u32 v23, v14, v39
	v_add_co_u32 v19, vcc_lo, s16, v33
	v_lshlrev_b64 v[17:18], 2, v[17:18]
	v_add_co_ci_u32_e32 v20, vcc_lo, s17, v34, vcc_lo
	v_mad_u64_u32 v[29:30], null, s8, v8, s[8:9]
	v_add_co_u32 v15, vcc_lo, s16, v15
	v_lshlrev_b64 v[21:22], 2, v[21:22]
	v_dual_mov_b32 v26, v7 :: v_dual_add_nc_u32 v25, 1, v23
	v_add_co_ci_u32_e32 v16, vcc_lo, s17, v16, vcc_lo
	v_add_co_u32 v17, vcc_lo, s16, v17
	v_lshlrev_b64 v[27:28], 2, v[23:24]
	v_dual_mov_b32 v31, v7 :: v_dual_add_nc_u32 v30, 2, v23
	v_add_co_ci_u32_e32 v18, vcc_lo, s17, v18, vcc_lo
	v_add_co_u32 v21, vcc_lo, s16, v21
	v_lshlrev_b64 v[24:25], 2, v[25:26]
	v_dual_mov_b32 v33, v7 :: v_dual_add_nc_u32 v32, v29, v37
	v_add_co_ci_u32_e32 v22, vcc_lo, s17, v22, vcc_lo
	v_add_co_u32 v26, vcc_lo, s16, v27
	v_lshlrev_b64 v[30:31], 2, v[30:31]
	v_add_co_ci_u32_e32 v27, vcc_lo, s17, v28, vcc_lo
	v_add_co_u32 v23, vcc_lo, s16, v24
	v_lshlrev_b64 v[33:34], 2, v[32:33]
	v_add_co_ci_u32_e32 v24, vcc_lo, s17, v25, vcc_lo
	v_dual_mov_b32 v38, v7 :: v_dual_add_nc_u32 v35, 1, v32
	v_add_co_u32 v30, vcc_lo, s16, v30
	v_add_nc_u32_e32 v13, v29, v13
	v_add_co_ci_u32_e32 v31, vcc_lo, s17, v31, vcc_lo
	v_dual_mov_b32 v14, v7 :: v_dual_add_nc_u32 v37, 2, v32
	v_add_co_u32 v33, vcc_lo, s16, v33
	v_lshlrev_b64 v[35:36], 2, v[35:36]
	v_add_co_ci_u32_e32 v34, vcc_lo, s17, v34, vcc_lo
	s_clause 0x7
	global_load_b32 v8, v[19:20], off
	global_load_b32 v28, v[15:16], off
	;; [unrolled: 1-line block ×8, first 2 shown]
	v_dual_mov_b32 v18, v7 :: v_dual_add_nc_u32 v17, 1, v13
	v_mov_b32_e32 v24, v7
	v_lshlrev_b64 v[15:16], 2, v[37:38]
	v_add_co_u32 v35, vcc_lo, s16, v35
	s_delay_alu instid0(VALU_DEP_4) | instskip(SKIP_1) | instid1(VALU_DEP_4)
	v_lshlrev_b64 v[17:18], 2, v[17:18]
	v_add_co_ci_u32_e32 v36, vcc_lo, s17, v36, vcc_lo
	v_add_co_u32 v15, vcc_lo, s16, v15
	v_add_nc_u32_e32 v21, v29, v39
	v_add_co_ci_u32_e32 v16, vcc_lo, s17, v16, vcc_lo
	v_lshlrev_b64 v[19:20], 2, v[13:14]
	v_dual_mov_b32 v22, v7 :: v_dual_add_nc_u32 v13, 2, v13
	v_add_co_u32 v17, vcc_lo, s16, v17
	v_add_co_ci_u32_e32 v18, vcc_lo, s17, v18, vcc_lo
	v_add_nc_u32_e32 v23, 1, v21
	s_delay_alu instid0(VALU_DEP_4)
	v_lshlrev_b64 v[13:14], 2, v[13:14]
	s_clause 0x1
	global_load_b32 v33, v[35:36], off
	global_load_b32 v29, v[17:18], off
	v_add_co_u32 v19, vcc_lo, s16, v19
	v_lshlrev_b64 v[17:18], 2, v[23:24]
	v_add_co_ci_u32_e32 v20, vcc_lo, s17, v20, vcc_lo
	v_add_co_u32 v13, vcc_lo, s16, v13
	v_lshlrev_b64 v[22:23], 2, v[21:22]
	v_add_co_ci_u32_e32 v14, vcc_lo, s17, v14, vcc_lo
	v_add_co_u32 v17, vcc_lo, s16, v17
	v_dual_mov_b32 v25, v7 :: v_dual_add_nc_u32 v24, 2, v21
	v_add_co_ci_u32_e32 v18, vcc_lo, s17, v18, vcc_lo
	v_add_co_u32 v21, vcc_lo, s16, v22
	v_add_co_ci_u32_e32 v22, vcc_lo, s17, v23, vcc_lo
	s_delay_alu instid0(VALU_DEP_4)
	v_lshlrev_b64 v[23:24], 2, v[24:25]
	s_clause 0x4
	global_load_b32 v15, v[15:16], off
	global_load_b32 v16, v[19:20], off
	;; [unrolled: 1-line block ×5, first 2 shown]
	v_add_co_u32 v13, vcc_lo, s16, v23
	v_add_co_ci_u32_e32 v14, vcc_lo, s17, v24, vcc_lo
	global_load_b32 v13, v[13:14], off
	s_waitcnt vmcnt(22)
	v_mul_f32_e32 v14, 0x3f371759, v41
	s_waitcnt vmcnt(16)
	v_dual_mul_f32 v20, 0x3f371759, v44 :: v_dual_mul_f32 v21, 0x3f371759, v47
	s_waitcnt vmcnt(13)
	v_mul_f32_e32 v22, 0x3f371759, v32
	s_delay_alu instid0(VALU_DEP_2) | instskip(NEXT) | instid1(VALU_DEP_1)
	v_dual_fmac_f32 v14, 0x3e59b3d0, v40 :: v_dual_fmac_f32 v21, 0x3e59b3d0, v46
	v_dual_fmac_f32 v14, 0x3d93dd98, v42 :: v_dual_fmac_f32 v21, 0x3d93dd98, v8
	s_waitcnt vmcnt(10)
	v_mul_f32_e32 v23, 0x3f371759, v27
	s_delay_alu instid0(VALU_DEP_1) | instskip(SKIP_1) | instid1(VALU_DEP_1)
	v_dual_fmac_f32 v20, 0x3e59b3d0, v43 :: v_dual_fmac_f32 v23, 0x3e59b3d0, v26
	s_waitcnt vmcnt(9)
	v_dual_fmac_f32 v20, 0x3d93dd98, v45 :: v_dual_fmac_f32 v23, 0x3d93dd98, v30
	s_delay_alu instid0(VALU_DEP_1) | instskip(NEXT) | instid1(VALU_DEP_1)
	v_add_f32_e32 v8, v14, v20
	v_add_f32_e32 v8, v8, v21
	s_waitcnt vmcnt(7)
	v_mul_f32_e32 v14, 0x3f371759, v33
	s_waitcnt vmcnt(6)
	v_mul_f32_e32 v20, 0x3f371759, v29
	s_delay_alu instid0(VALU_DEP_2) | instskip(SKIP_1) | instid1(VALU_DEP_1)
	v_fmac_f32_e32 v14, 0x3e59b3d0, v31
	s_waitcnt vmcnt(5)
	v_fmac_f32_e32 v14, 0x3d93dd98, v15
	s_waitcnt vmcnt(4)
	;; [unrolled: 2-line block ×3, first 2 shown]
	v_mul_f32_e32 v15, 0x3f371759, v17
	v_fmac_f32_e32 v22, 0x3e59b3d0, v28
	s_waitcnt vmcnt(2)
	v_fmac_f32_e32 v20, 0x3d93dd98, v18
	s_waitcnt vmcnt(1)
	;; [unrolled: 2-line block ×3, first 2 shown]
	s_delay_alu instid0(VALU_DEP_1) | instskip(NEXT) | instid1(VALU_DEP_1)
	v_dual_fmac_f32 v22, 0x3d93dd98, v48 :: v_dual_fmac_f32 v15, 0x3d93dd98, v13
	v_add_f32_e32 v8, v8, v22
	s_delay_alu instid0(VALU_DEP_1) | instskip(NEXT) | instid1(VALU_DEP_1)
	v_add_f32_e32 v8, v8, v23
	v_add_f32_e32 v8, v8, v14
	s_delay_alu instid0(VALU_DEP_1) | instskip(NEXT) | instid1(VALU_DEP_1)
	v_add_f32_e32 v8, v8, v20
	v_add_f32_e32 v8, v8, v15
	s_delay_alu instid0(VALU_DEP_1)
	v_mul_f32_e32 v15, 0x3e000000, v8
.LBB0_2:
	s_or_b32 exec_lo, exec_lo, s0
	s_delay_alu instid0(VALU_DEP_1) | instskip(SKIP_2) | instid1(VALU_DEP_3)
	v_div_scale_f32 v8, null, v12, v12, v15
	v_div_scale_f32 v16, vcc_lo, v15, v12, v15
	v_div_scale_f32 v23, s1, v11, v12, v11
	v_rcp_f32_e32 v13, v8
	v_div_scale_f32 v26, s2, v10, v12, v10
	v_div_scale_f32 v24, s0, v9, v12, v9
	v_add_nc_u32_e32 v6, 3, v6
	s_delay_alu instid0(VALU_DEP_1) | instskip(SKIP_2) | instid1(VALU_DEP_1)
	v_lshlrev_b64 v[6:7], 2, v[6:7]
	s_waitcnt_depctr 0xfff
	v_fma_f32 v14, -v8, v13, 1.0
	v_fmac_f32_e32 v13, v14, v13
	s_delay_alu instid0(VALU_DEP_1) | instskip(NEXT) | instid1(VALU_DEP_1)
	v_mul_f32_e32 v14, v16, v13
	v_fma_f32 v17, -v8, v14, v16
	s_delay_alu instid0(VALU_DEP_1) | instskip(SKIP_1) | instid1(VALU_DEP_2)
	v_fmac_f32_e32 v14, v17, v13
	v_div_scale_f32 v17, null, v12, v12, v10
	v_fma_f32 v8, -v8, v14, v16
	s_delay_alu instid0(VALU_DEP_2) | instskip(NEXT) | instid1(VALU_DEP_1)
	v_rcp_f32_e32 v21, v17
	v_div_fmas_f32 v8, v8, v13, v14
	s_delay_alu instid0(VALU_DEP_1) | instskip(SKIP_2) | instid1(VALU_DEP_1)
	v_div_fixup_f32 v8, v8, v12, v15
	s_waitcnt_depctr 0xfff
	v_fma_f32 v25, -v17, v21, 1.0
	v_dual_add_f32 v8, s23, v8 :: v_dual_fmac_f32 v21, v25, v21
	s_delay_alu instid0(VALU_DEP_1) | instskip(NEXT) | instid1(VALU_DEP_2)
	v_cmp_gt_f32_e32 vcc_lo, 0x800000, v8
	v_mul_f32_e32 v29, v26, v21
	v_cndmask_b32_e64 v13, 1.0, 0x4f800000, vcc_lo
	s_delay_alu instid0(VALU_DEP_2) | instskip(NEXT) | instid1(VALU_DEP_2)
	v_fma_f32 v31, -v17, v29, v26
	v_mul_f32_e32 v8, v8, v13
	s_delay_alu instid0(VALU_DEP_2) | instskip(NEXT) | instid1(VALU_DEP_2)
	v_fmac_f32_e32 v29, v31, v21
	v_log_f32_e32 v8, v8
	s_delay_alu instid0(VALU_DEP_1) | instskip(SKIP_2) | instid1(VALU_DEP_1)
	v_fma_f32 v17, -v17, v29, v26
	s_waitcnt_depctr 0xfff
	v_mul_f32_e32 v13, 0x3f317217, v8
	v_fma_f32 v14, 0x3f317217, v8, -v13
	s_delay_alu instid0(VALU_DEP_1) | instskip(NEXT) | instid1(VALU_DEP_1)
	v_fmamk_f32 v14, v8, 0x3377d1cf, v14
	v_add_f32_e32 v13, v13, v14
	v_cndmask_b32_e64 v14, 0, 0x41b17218, vcc_lo
	v_cmp_gt_f32_e64 vcc_lo, 0x7f800000, |v8|
	s_delay_alu instid0(VALU_DEP_3) | instskip(NEXT) | instid1(VALU_DEP_1)
	v_cndmask_b32_e32 v8, v8, v13, vcc_lo
	v_sub_f32_e32 v8, v8, v14
	v_div_scale_f32 v14, null, v12, v12, v9
	s_delay_alu instid0(VALU_DEP_2) | instskip(SKIP_1) | instid1(VALU_DEP_3)
	v_mul_f32_e32 v13, v15, v8
	v_div_scale_f32 v8, null, v12, v12, v11
	v_rcp_f32_e32 v20, v14
	s_delay_alu instid0(VALU_DEP_2) | instskip(NEXT) | instid1(VALU_DEP_2)
	v_fmac_f32_e64 v13, s20, s22
	v_rcp_f32_e32 v18, v8
	s_mov_b32 s20, 0x3e76c4e1
	s_waitcnt_depctr 0xfff
	v_fma_f32 v16, -v14, v20, 1.0
	v_fma_f32 v15, -v8, v18, 1.0
	s_delay_alu instid0(VALU_DEP_1) | instskip(NEXT) | instid1(VALU_DEP_1)
	v_dual_add_f32 v13, v12, v13 :: v_dual_fmac_f32 v18, v15, v18
	v_div_scale_f32 v19, null, v13, v13, v12
	v_div_scale_f32 v25, vcc_lo, v12, v13, v12
	s_delay_alu instid0(VALU_DEP_3) | instskip(NEXT) | instid1(VALU_DEP_3)
	v_mul_f32_e32 v27, v23, v18
	v_rcp_f32_e32 v22, v19
	s_waitcnt_depctr 0xfff
	v_fma_f32 v15, -v19, v22, 1.0
	s_delay_alu instid0(VALU_DEP_1) | instskip(SKIP_2) | instid1(VALU_DEP_3)
	v_fmac_f32_e32 v22, v15, v22
	v_fma_f32 v15, -v8, v27, v23
	v_fmac_f32_e32 v20, v16, v20
	v_mul_f32_e32 v30, v25, v22
	s_delay_alu instid0(VALU_DEP_2) | instskip(SKIP_1) | instid1(VALU_DEP_3)
	v_dual_fmac_f32 v27, v15, v18 :: v_dual_mul_f32 v28, v24, v20
	v_add_co_u32 v15, s3, s16, v6
	v_fma_f32 v32, -v19, v30, v25
	s_delay_alu instid0(VALU_DEP_3) | instskip(NEXT) | instid1(VALU_DEP_4)
	v_fma_f32 v8, -v8, v27, v23
	v_fma_f32 v16, -v14, v28, v24
	s_delay_alu instid0(VALU_DEP_3) | instskip(NEXT) | instid1(VALU_DEP_2)
	v_fmac_f32_e32 v30, v32, v22
	v_fmac_f32_e32 v28, v16, v20
	v_add_co_ci_u32_e64 v16, s3, s17, v7, s3
	s_delay_alu instid0(VALU_DEP_3) | instskip(NEXT) | instid1(VALU_DEP_3)
	v_fma_f32 v19, -v19, v30, v25
	v_fma_f32 v14, -v14, v28, v24
	s_delay_alu instid0(VALU_DEP_2)
	v_div_fmas_f32 v19, v19, v22, v30
	s_mov_b32 vcc_lo, s1
	v_div_fmas_f32 v8, v8, v18, v27
	s_mov_b32 vcc_lo, s0
	;; [unrolled: 2-line block ×3, first 2 shown]
	s_delay_alu instid0(VALU_DEP_2)
	v_div_fixup_f32 v18, v8, v12, v11
	v_div_fmas_f32 v17, v17, v21, v29
	global_load_b32 v8, v[15:16], off
	v_div_fixup_f32 v15, v14, v12, v9
	v_div_fixup_f32 v9, v19, v13, v12
	v_cmp_eq_f32_e32 vcc_lo, 1.0, v18
	v_div_fixup_f32 v26, v17, v12, v10
	s_delay_alu instid0(VALU_DEP_4) | instskip(SKIP_1) | instid1(VALU_DEP_3)
	v_cmp_eq_f32_e64 s0, 1.0, v15
	v_cndmask_b32_e64 v10, s21, 1.0, vcc_lo
	v_cmp_eq_f32_e64 s1, 1.0, v26
	v_cndmask_b32_e64 v17, |s21|, 1.0, vcc_lo
	s_delay_alu instid0(VALU_DEP_4)
	v_cndmask_b32_e64 v11, s21, 1.0, s0
	v_cndmask_b32_e64 v19, |s21|, 1.0, s0
	v_cmp_eq_f32_e64 s2, 0, v10
	v_cndmask_b32_e64 v12, s21, 1.0, s1
	v_trunc_f32_e32 v22, v10
	v_cmp_eq_f32_e64 s3, 0, v11
	v_cndmask_b32_e64 v16, |s21|, 1.0, s1
	v_cndmask_b32_e64 v27, |v18|, 1.0, s2
	v_cmp_eq_f32_e64 s4, 0, v12
	v_trunc_f32_e32 v31, v12
	v_cndmask_b32_e64 v29, |v15|, 1.0, s3
	v_cndmask_b32_e64 v13, v18, 1.0, s2
	v_frexp_mant_f32_e32 v33, v27
	v_cndmask_b32_e64 v14, |v26|, 1.0, s4
	v_cndmask_b32_e64 v18, v26, 1.0, s4
	v_frexp_mant_f32_e32 v35, v29
	v_cmp_eq_f32_e64 s4, v31, v12
	v_cmp_gt_f32_e64 s14, 0x3f2aaaab, v33
	v_cmp_eq_f32_e64 s1, v22, v10
	v_cvt_f64_f32_e32 v[22:23], v29
	v_cmp_gt_f32_e64 s15, 0x3f2aaaab, v35
	v_trunc_f32_e32 v24, v11
	v_cndmask_b32_e64 v31, 1.0, 2.0, s14
	v_mul_f32_e32 v28, 0.5, v10
	v_frexp_mant_f32_e32 v37, v14
	v_cndmask_b32_e64 v38, 1.0, 2.0, s15
	v_cmp_eq_f32_e64 s2, v24, v11
	v_mul_f32_e32 v31, v33, v31
	v_cvt_f64_f32_e32 v[24:25], v14
	v_trunc_f32_e32 v34, v28
	v_mul_f32_e32 v33, v35, v38
	v_cmp_gt_f32_e64 s17, 0x3f2aaaab, v37
	v_add_f32_e32 v35, 1.0, v31
	v_cvt_f64_f32_e32 v[20:21], v27
	v_cmp_neq_f32_e64 s16, v34, v28
	v_cmp_neq_f32_e64 s5, v10, v17
	v_cndmask_b32_e64 v28, 1.0, 2.0, s17
	v_add_f32_e32 v44, -1.0, v35
	v_add_f32_e32 v40, -1.0, v31
	v_cmp_gt_f32_e64 s6, 1.0, v27
	v_cndmask_b32_e64 v15, v15, 1.0, s3
	v_cmp_neq_f32_e64 s10, v11, v19
	v_dual_sub_f32 v31, v31, v44 :: v_dual_mul_f32 v30, 0.5, v11
	v_cmp_gt_f32_e64 s11, 1.0, v29
	s_xor_b32 s3, s5, s6
	v_cmp_eq_f32_e32 vcc_lo, 0x7f800000, v27
	v_cndmask_b32_e64 v34, v17, 0, s3
	v_trunc_f32_e32 v36, v30
	s_xor_b32 s5, s10, s11
	v_cmp_eq_f32_e64 s3, 0, v13
	v_cmp_gt_f32_e64 s8, 0, v10
	v_cmp_gt_f32_e64 s7, 0, v11
	v_cmp_neq_f32_e64 s9, v36, v30
	v_rcp_f32_e32 v36, v35
	s_or_b32 vcc_lo, vcc_lo, s3
	v_cndmask_b32_e64 v39, v19, 0, s5
	v_frexp_exp_i32_f64_e32 v22, v[22:23]
	v_cmp_eq_f32_e64 s5, 0, v15
	s_xor_b32 s8, s8, s3
	v_cmp_eq_f32_e64 s0, 0x7f800000, v29
	v_cmp_neq_f32_e64 s12, v12, v16
	v_cmp_gt_f32_e64 s13, 1.0, v14
	s_xor_b32 s7, s7, s5
	v_mul_f32_e32 v47, v40, v36
	v_dual_mul_f32 v28, v37, v28 :: v_dual_add_f32 v37, 1.0, v33
	v_add_f32_e32 v42, -1.0, v33
	v_frexp_exp_i32_f64_e32 v23, v[24:25]
	s_xor_b32 s10, s12, s13
	s_delay_alu instid0(VALU_DEP_3) | instskip(SKIP_3) | instid1(VALU_DEP_3)
	v_dual_add_f32 v45, -1.0, v37 :: v_dual_mul_f32 v32, 0.5, v12
	v_rcp_f32_e32 v38, v37
	v_frexp_exp_i32_f64_e32 v21, v[20:21]
	v_cndmask_b32_e64 v20, v16, 0, s10
	v_sub_f32_e32 v33, v33, v45
	v_mul_f32_e32 v45, v35, v47
	v_trunc_f32_e32 v26, v32
	v_add_f32_e32 v43, -1.0, v28
	s_and_b32 s10, s1, s16
	s_delay_alu instid0(VALU_DEP_3) | instskip(SKIP_2) | instid1(VALU_DEP_2)
	v_fma_f32 v35, v47, v35, -v45
	v_add_f32_e32 v30, 1.0, v28
	v_cmp_neq_f32_e64 s6, v26, v32
	v_dual_fmac_f32 v35, v47, v31 :: v_dual_add_f32 v46, -1.0, v30
	v_rcp_f32_e32 v41, v30
	s_delay_alu instid0(VALU_DEP_2) | instskip(NEXT) | instid1(VALU_DEP_1)
	s_and_b32 s6, s4, s6
	v_dual_add_f32 v25, v45, v35 :: v_dual_mul_f32 v48, v42, v38
	v_subrev_co_ci_u32_e64 v22, s11, 0, v22, s15
	s_delay_alu instid0(VALU_DEP_2) | instskip(NEXT) | instid1(VALU_DEP_3)
	v_sub_f32_e32 v31, v25, v45
	v_dual_mul_f32 v49, v37, v48 :: v_dual_sub_f32 v28, v28, v46
	s_delay_alu instid0(VALU_DEP_3) | instskip(NEXT) | instid1(VALU_DEP_3)
	v_cvt_f32_i32_e32 v22, v22
	v_sub_f32_e32 v31, v31, v35
	s_delay_alu instid0(VALU_DEP_3) | instskip(SKIP_1) | instid1(VALU_DEP_2)
	v_fma_f32 v37, v48, v37, -v49
	v_subrev_co_ci_u32_e64 v23, s11, 0, v23, s17
	v_fmac_f32_e32 v37, v48, v33
	s_delay_alu instid0(VALU_DEP_2) | instskip(SKIP_1) | instid1(VALU_DEP_3)
	v_cvt_f32_i32_e32 v23, v23
	v_subrev_co_ci_u32_e64 v21, s11, 0, v21, s14
	v_add_f32_e32 v26, v49, v37
	v_mul_f32_e32 v44, v43, v41
	v_cmp_eq_f32_e64 s11, 1.0, v27
	s_delay_alu instid0(VALU_DEP_4) | instskip(NEXT) | instid1(VALU_DEP_4)
	v_cvt_f32_i32_e32 v21, v21
	v_sub_f32_e32 v33, v42, v26
	s_delay_alu instid0(VALU_DEP_4) | instskip(NEXT) | instid1(VALU_DEP_4)
	v_mul_f32_e32 v46, v30, v44
	v_cndmask_b32_e64 v27, v34, v27, s11
	s_delay_alu instid0(VALU_DEP_3) | instskip(NEXT) | instid1(VALU_DEP_3)
	v_sub_f32_e32 v35, v42, v33
	v_fma_f32 v24, v44, v30, -v46
	v_sub_f32_e32 v30, v40, v25
	s_delay_alu instid0(VALU_DEP_2) | instskip(NEXT) | instid1(VALU_DEP_2)
	v_fmac_f32_e32 v24, v44, v28
	v_sub_f32_e32 v40, v40, v30
	s_delay_alu instid0(VALU_DEP_1) | instskip(NEXT) | instid1(VALU_DEP_1)
	v_dual_sub_f32 v25, v40, v25 :: v_dual_add_f32 v28, v46, v24
	v_dual_mul_f32 v40, 0x3f317218, v23 :: v_dual_add_f32 v25, v31, v25
	s_delay_alu instid0(VALU_DEP_2) | instskip(SKIP_1) | instid1(VALU_DEP_2)
	v_dual_sub_f32 v45, v43, v28 :: v_dual_sub_f32 v46, v28, v46
	v_cndmask_b32_e64 v31, 1.0, v13, s10
	v_sub_f32_e32 v42, v43, v45
	s_delay_alu instid0(VALU_DEP_3) | instskip(NEXT) | instid1(VALU_DEP_2)
	v_sub_f32_e32 v24, v46, v24
	v_sub_f32_e32 v28, v42, v28
	s_delay_alu instid0(VALU_DEP_1) | instskip(NEXT) | instid1(VALU_DEP_1)
	v_add_f32_e32 v24, v24, v28
	v_add_f32_e32 v24, v45, v24
	s_delay_alu instid0(VALU_DEP_1) | instskip(SKIP_3) | instid1(VALU_DEP_4)
	v_mul_f32_e32 v24, v41, v24
	v_sub_f32_e32 v32, v26, v49
	v_sub_f32_e32 v26, v35, v26
	v_fma_f32 v49, 0x3f317218, v23, -v40
	v_add_f32_e32 v35, v44, v24
	s_delay_alu instid0(VALU_DEP_2) | instskip(NEXT) | instid1(VALU_DEP_2)
	v_dual_sub_f32 v32, v32, v37 :: v_dual_fmac_f32 v49, 0xb102e308, v23
	v_sub_f32_e32 v44, v35, v44
	s_delay_alu instid0(VALU_DEP_2) | instskip(NEXT) | instid1(VALU_DEP_1)
	v_add_f32_e32 v26, v32, v26
	v_add_f32_e32 v26, v33, v26
	v_mul_f32_e32 v33, 0x3f317218, v22
	v_add_f32_e32 v25, v30, v25
	s_delay_alu instid0(VALU_DEP_2) | instskip(NEXT) | instid1(VALU_DEP_1)
	v_fma_f32 v46, 0x3f317218, v22, -v33
	v_dual_mul_f32 v25, v36, v25 :: v_dual_fmac_f32 v46, 0xb102e308, v22
	s_delay_alu instid0(VALU_DEP_1) | instskip(SKIP_1) | instid1(VALU_DEP_2)
	v_add_f32_e32 v28, v47, v25
	v_sub_f32_e32 v22, v24, v44
	v_sub_f32_e32 v36, v28, v47
	v_mul_f32_e32 v37, v28, v28
	v_mul_f32_e32 v47, v35, v35
	s_delay_alu instid0(VALU_DEP_4) | instskip(NEXT) | instid1(VALU_DEP_4)
	v_add_f32_e32 v51, v22, v22
	v_sub_f32_e32 v25, v25, v36
	s_delay_alu instid0(VALU_DEP_4) | instskip(NEXT) | instid1(VALU_DEP_2)
	v_fma_f32 v36, v28, v28, -v37
	v_add_f32_e32 v24, v25, v25
	v_ldexp_f32 v44, v25, 1
	s_delay_alu instid0(VALU_DEP_2) | instskip(NEXT) | instid1(VALU_DEP_1)
	v_fmac_f32_e32 v36, v28, v24
	v_add_f32_e32 v24, v37, v36
	v_mul_f32_e32 v30, 0x3f317218, v21
	s_delay_alu instid0(VALU_DEP_2) | instskip(NEXT) | instid1(VALU_DEP_2)
	v_sub_f32_e32 v37, v24, v37
	v_fma_f32 v41, 0x3f317218, v21, -v30
	v_fmaak_f32 v54, s20, v24, 0x3e91f4c4
	s_delay_alu instid0(VALU_DEP_3) | instskip(NEXT) | instid1(VALU_DEP_3)
	v_sub_f32_e32 v36, v36, v37
	v_fmac_f32_e32 v41, 0xb102e308, v21
	s_delay_alu instid0(VALU_DEP_1) | instskip(SKIP_1) | instid1(VALU_DEP_1)
	v_dual_fmaak_f32 v54, v24, v54, 0x3ecccdef :: v_dual_add_f32 v23, v30, v41
	v_mul_f32_e32 v26, v38, v26
	v_add_f32_e32 v32, v48, v26
	s_delay_alu instid0(VALU_DEP_1) | instskip(SKIP_1) | instid1(VALU_DEP_2)
	v_sub_f32_e32 v42, v32, v48
	v_ldexp_f32 v48, v35, 1
	v_sub_f32_e32 v21, v26, v42
	v_fma_f32 v42, v35, v35, -v47
	s_delay_alu instid0(VALU_DEP_2) | instskip(NEXT) | instid1(VALU_DEP_2)
	v_add_f32_e32 v50, v21, v21
	v_dual_fmac_f32 v42, v35, v51 :: v_dual_add_f32 v51, v33, v46
	v_mul_f32_e32 v55, v28, v24
	v_ldexp_f32 v38, v28, 1
	s_delay_alu instid0(VALU_DEP_3) | instskip(NEXT) | instid1(VALU_DEP_3)
	v_add_f32_e32 v53, v47, v42
	v_fma_f32 v37, v24, v28, -v55
	s_delay_alu instid0(VALU_DEP_2) | instskip(SKIP_1) | instid1(VALU_DEP_3)
	v_sub_f32_e32 v47, v53, v47
	v_mul_f32_e32 v59, v35, v53
	v_fmac_f32_e32 v37, v24, v25
	v_mul_f32_e32 v25, v24, v54
	s_delay_alu instid0(VALU_DEP_4) | instskip(NEXT) | instid1(VALU_DEP_4)
	v_dual_mul_f32 v43, v32, v32 :: v_dual_sub_f32 v42, v42, v47
	v_fma_f32 v47, v53, v35, -v59
	v_ldexp_f32 v45, v32, 1
	s_delay_alu instid0(VALU_DEP_4) | instskip(NEXT) | instid1(VALU_DEP_4)
	v_fma_f32 v24, v24, v54, -v25
	v_fma_f32 v26, v32, v32, -v43
	s_delay_alu instid0(VALU_DEP_4) | instskip(NEXT) | instid1(VALU_DEP_3)
	v_fmac_f32_e32 v47, v53, v22
	v_fmac_f32_e32 v24, v36, v54
	s_delay_alu instid0(VALU_DEP_3) | instskip(SKIP_1) | instid1(VALU_DEP_4)
	v_fmac_f32_e32 v26, v32, v50
	v_ldexp_f32 v50, v21, 1
	v_fmac_f32_e32 v47, v42, v35
	v_ldexp_f32 v22, v22, 1
	v_add_f32_e32 v35, v25, v24
	s_delay_alu instid0(VALU_DEP_1) | instskip(NEXT) | instid1(VALU_DEP_1)
	v_dual_add_f32 v54, 0x3f2aaaaa, v35 :: v_dual_sub_f32 v25, v35, v25
	v_dual_sub_f32 v24, v24, v25 :: v_dual_add_f32 v25, 0xbf2aaaaa, v54
	v_dual_add_f32 v52, v43, v26 :: v_dual_fmac_f32 v37, v36, v28
	s_delay_alu instid0(VALU_DEP_2) | instskip(NEXT) | instid1(VALU_DEP_2)
	v_dual_add_f32 v24, 0x31739010, v24 :: v_dual_sub_f32 v25, v35, v25
	v_sub_f32_e32 v43, v52, v43
	v_mul_f32_e32 v57, v32, v52
	v_fmaak_f32 v56, s20, v52, 0x3e91f4c4
	s_delay_alu instid0(VALU_DEP_4) | instskip(NEXT) | instid1(VALU_DEP_4)
	v_add_f32_e32 v24, v24, v25
	v_sub_f32_e32 v26, v26, v43
	s_delay_alu instid0(VALU_DEP_4) | instskip(NEXT) | instid1(VALU_DEP_4)
	v_fma_f32 v43, v52, v32, -v57
	v_fmaak_f32 v56, v52, v56, 0x3ecccdef
	s_delay_alu instid0(VALU_DEP_2) | instskip(NEXT) | instid1(VALU_DEP_2)
	v_fmac_f32_e32 v43, v52, v21
	v_dual_fmaak_f32 v58, s20, v53, 0x3e91f4c4 :: v_dual_mul_f32 v21, v52, v56
	s_delay_alu instid0(VALU_DEP_1) | instskip(NEXT) | instid1(VALU_DEP_2)
	v_dual_fmac_f32 v43, v26, v32 :: v_dual_fmaak_f32 v58, v53, v58, 0x3ecccdef
	v_fma_f32 v28, v52, v56, -v21
	v_add_f32_e32 v52, v59, v47
	s_delay_alu instid0(VALU_DEP_3) | instskip(NEXT) | instid1(VALU_DEP_4)
	v_add_f32_e32 v36, v57, v43
	v_mul_f32_e32 v60, v53, v58
	s_delay_alu instid0(VALU_DEP_1) | instskip(NEXT) | instid1(VALU_DEP_1)
	v_fma_f32 v32, v53, v58, -v60
	v_fmac_f32_e32 v32, v42, v58
	s_delay_alu instid0(VALU_DEP_1) | instskip(SKIP_1) | instid1(VALU_DEP_2)
	v_add_f32_e32 v53, v60, v32
	v_fmac_f32_e32 v28, v26, v56
	v_add_f32_e32 v58, 0x3f2aaaaa, v53
	v_sub_f32_e32 v60, v53, v60
	s_delay_alu instid0(VALU_DEP_1) | instskip(NEXT) | instid1(VALU_DEP_3)
	v_sub_f32_e32 v32, v32, v60
	v_add_f32_e32 v60, 0xbf2aaaaa, v58
	s_delay_alu instid0(VALU_DEP_2) | instskip(NEXT) | instid1(VALU_DEP_2)
	v_add_f32_e32 v32, 0x31739010, v32
	v_sub_f32_e32 v35, v53, v60
	s_delay_alu instid0(VALU_DEP_1) | instskip(SKIP_1) | instid1(VALU_DEP_1)
	v_add_f32_e32 v32, v32, v35
	v_dual_add_f32 v26, v55, v37 :: v_dual_add_f32 v35, v54, v24
	v_sub_f32_e32 v25, v26, v55
	s_delay_alu instid0(VALU_DEP_1) | instskip(NEXT) | instid1(VALU_DEP_4)
	v_sub_f32_e32 v25, v37, v25
	v_add_f32_e32 v37, v58, v32
	s_delay_alu instid0(VALU_DEP_4) | instskip(NEXT) | instid1(VALU_DEP_1)
	v_dual_add_f32 v42, v21, v28 :: v_dual_mul_f32 v55, v26, v35
	v_dual_add_f32 v56, 0x3f2aaaaa, v42 :: v_dual_sub_f32 v21, v42, v21
	s_delay_alu instid0(VALU_DEP_1) | instskip(NEXT) | instid1(VALU_DEP_1)
	v_dual_sub_f32 v21, v28, v21 :: v_dual_add_f32 v28, 0xbf2aaaaa, v56
	v_dual_add_f32 v21, 0x31739010, v21 :: v_dual_sub_f32 v28, v42, v28
	s_delay_alu instid0(VALU_DEP_1) | instskip(NEXT) | instid1(VALU_DEP_1)
	v_add_f32_e32 v21, v21, v28
	v_add_f32_e32 v53, v56, v21
	s_delay_alu instid0(VALU_DEP_1) | instskip(NEXT) | instid1(VALU_DEP_1)
	v_sub_f32_e32 v56, v56, v53
	v_dual_add_f32 v21, v21, v56 :: v_dual_sub_f32 v42, v52, v59
	v_mul_f32_e32 v59, v52, v37
	v_sub_f32_e32 v28, v36, v57
	v_mul_f32_e32 v57, v36, v53
	s_delay_alu instid0(VALU_DEP_1) | instskip(NEXT) | instid1(VALU_DEP_1)
	v_fma_f32 v56, v36, v53, -v57
	v_dual_fmac_f32 v56, v36, v21 :: v_dual_sub_f32 v21, v47, v42
	v_sub_f32_e32 v54, v54, v35
	s_delay_alu instid0(VALU_DEP_1) | instskip(SKIP_1) | instid1(VALU_DEP_1)
	v_add_f32_e32 v24, v24, v54
	v_fma_f32 v54, v26, v35, -v55
	v_fmac_f32_e32 v54, v26, v24
	v_sub_f32_e32 v24, v43, v28
	v_sub_f32_e32 v28, v51, v33
	s_delay_alu instid0(VALU_DEP_3) | instskip(NEXT) | instid1(VALU_DEP_3)
	v_fmac_f32_e32 v54, v25, v35
	v_dual_fmac_f32 v56, v24, v53 :: v_dual_sub_f32 v25, v23, v30
	v_add_f32_e32 v24, v40, v49
	s_delay_alu instid0(VALU_DEP_2) | instskip(NEXT) | instid1(VALU_DEP_3)
	v_add_f32_e32 v26, v57, v56
	v_sub_f32_e32 v25, v41, v25
	s_delay_alu instid0(VALU_DEP_2) | instskip(NEXT) | instid1(VALU_DEP_1)
	v_dual_sub_f32 v35, v26, v57 :: v_dual_add_f32 v36, v45, v26
	v_sub_f32_e32 v35, v56, v35
	s_delay_alu instid0(VALU_DEP_2) | instskip(NEXT) | instid1(VALU_DEP_2)
	v_sub_f32_e32 v43, v36, v45
	v_add_f32_e32 v35, v50, v35
	s_delay_alu instid0(VALU_DEP_2) | instskip(NEXT) | instid1(VALU_DEP_1)
	v_sub_f32_e32 v26, v26, v43
	v_add_f32_e32 v26, v35, v26
	s_delay_alu instid0(VALU_DEP_1) | instskip(NEXT) | instid1(VALU_DEP_1)
	v_dual_sub_f32 v58, v58, v37 :: v_dual_add_f32 v35, v36, v26
	v_add_f32_e32 v32, v32, v58
	v_fma_f32 v58, v52, v37, -v59
	s_delay_alu instid0(VALU_DEP_3) | instskip(NEXT) | instid1(VALU_DEP_2)
	v_sub_f32_e32 v36, v35, v36
	v_fmac_f32_e32 v58, v52, v32
	s_delay_alu instid0(VALU_DEP_1) | instskip(NEXT) | instid1(VALU_DEP_1)
	v_dual_fmac_f32 v58, v21, v37 :: v_dual_add_f32 v21, v55, v54
	v_add_f32_e32 v30, v59, v58
	s_delay_alu instid0(VALU_DEP_2) | instskip(NEXT) | instid1(VALU_DEP_2)
	v_dual_sub_f32 v32, v21, v55 :: v_dual_add_f32 v33, v38, v21
	v_dual_sub_f32 v37, v30, v59 :: v_dual_add_f32 v42, v48, v30
	s_delay_alu instid0(VALU_DEP_2) | instskip(NEXT) | instid1(VALU_DEP_2)
	v_sub_f32_e32 v32, v54, v32
	v_dual_sub_f32 v38, v33, v38 :: v_dual_sub_f32 v37, v58, v37
	s_delay_alu instid0(VALU_DEP_3) | instskip(NEXT) | instid1(VALU_DEP_2)
	v_sub_f32_e32 v45, v42, v48
	v_dual_add_f32 v32, v44, v32 :: v_dual_sub_f32 v21, v21, v38
	s_delay_alu instid0(VALU_DEP_3) | instskip(NEXT) | instid1(VALU_DEP_3)
	v_add_f32_e32 v22, v22, v37
	v_sub_f32_e32 v30, v30, v45
	s_delay_alu instid0(VALU_DEP_1) | instskip(NEXT) | instid1(VALU_DEP_1)
	v_dual_add_f32 v21, v32, v21 :: v_dual_add_f32 v22, v22, v30
	v_add_f32_e32 v30, v33, v21
	s_delay_alu instid0(VALU_DEP_1) | instskip(NEXT) | instid1(VALU_DEP_1)
	v_dual_sub_f32 v33, v30, v33 :: v_dual_add_f32 v38, v23, v30
	v_sub_f32_e32 v21, v21, v33
	s_delay_alu instid0(VALU_DEP_2) | instskip(NEXT) | instid1(VALU_DEP_1)
	v_sub_f32_e32 v33, v38, v23
	v_sub_f32_e32 v43, v38, v33
	;; [unrolled: 1-line block ×3, first 2 shown]
	s_delay_alu instid0(VALU_DEP_4) | instskip(NEXT) | instid1(VALU_DEP_3)
	v_add_f32_e32 v33, v25, v21
	v_sub_f32_e32 v23, v23, v43
	s_delay_alu instid0(VALU_DEP_2) | instskip(SKIP_1) | instid1(VALU_DEP_3)
	v_sub_f32_e32 v43, v33, v25
	v_add_f32_e32 v37, v42, v22
	v_add_f32_e32 v23, v30, v23
	s_delay_alu instid0(VALU_DEP_3) | instskip(SKIP_1) | instid1(VALU_DEP_3)
	v_sub_f32_e32 v30, v33, v43
	v_dual_sub_f32 v21, v21, v43 :: v_dual_sub_f32 v28, v46, v28
	v_add_f32_e32 v23, v33, v23
	v_sub_f32_e32 v41, v37, v42
	s_delay_alu instid0(VALU_DEP_4) | instskip(NEXT) | instid1(VALU_DEP_3)
	v_dual_sub_f32 v25, v25, v30 :: v_dual_add_f32 v42, v24, v37
	v_add_f32_e32 v30, v38, v23
	v_sub_f32_e32 v32, v24, v40
	s_delay_alu instid0(VALU_DEP_3) | instskip(SKIP_2) | instid1(VALU_DEP_3)
	v_dual_add_f32 v40, v51, v35 :: v_dual_add_f32 v21, v21, v25
	v_sub_f32_e32 v26, v26, v36
	v_sub_f32_e32 v22, v22, v41
	v_dual_sub_f32 v41, v42, v24 :: v_dual_sub_f32 v36, v40, v51
	s_delay_alu instid0(VALU_DEP_1) | instskip(NEXT) | instid1(VALU_DEP_4)
	v_dual_sub_f32 v45, v42, v41 :: v_dual_sub_f32 v44, v40, v36
	v_dual_sub_f32 v35, v35, v36 :: v_dual_add_f32 v36, v28, v26
	v_sub_f32_e32 v37, v37, v41
	s_delay_alu instid0(VALU_DEP_3) | instskip(NEXT) | instid1(VALU_DEP_4)
	v_sub_f32_e32 v24, v24, v45
	v_sub_f32_e32 v44, v51, v44
	s_delay_alu instid0(VALU_DEP_4) | instskip(NEXT) | instid1(VALU_DEP_3)
	v_sub_f32_e32 v46, v36, v28
	v_add_f32_e32 v24, v37, v24
	s_delay_alu instid0(VALU_DEP_3) | instskip(NEXT) | instid1(VALU_DEP_3)
	v_add_f32_e32 v35, v35, v44
	v_sub_f32_e32 v43, v36, v46
	s_delay_alu instid0(VALU_DEP_2) | instskip(NEXT) | instid1(VALU_DEP_2)
	v_dual_sub_f32 v26, v26, v46 :: v_dual_add_f32 v33, v36, v35
	v_sub_f32_e32 v28, v28, v43
	s_delay_alu instid0(VALU_DEP_2) | instskip(NEXT) | instid1(VALU_DEP_2)
	v_dual_add_f32 v35, v40, v33 :: v_dual_sub_f32 v32, v49, v32
	v_add_f32_e32 v25, v26, v28
	s_delay_alu instid0(VALU_DEP_2) | instskip(NEXT) | instid1(VALU_DEP_1)
	v_add_f32_e32 v41, v32, v22
	v_sub_f32_e32 v45, v41, v32
	v_add_f32_e32 v24, v41, v24
	s_delay_alu instid0(VALU_DEP_2) | instskip(SKIP_1) | instid1(VALU_DEP_2)
	v_sub_f32_e32 v37, v41, v45
	v_sub_f32_e32 v22, v22, v45
	v_dual_sub_f32 v32, v32, v37 :: v_dual_sub_f32 v37, v30, v38
	v_sub_f32_e32 v38, v35, v40
	s_delay_alu instid0(VALU_DEP_2) | instskip(NEXT) | instid1(VALU_DEP_2)
	v_dual_add_f32 v22, v22, v32 :: v_dual_sub_f32 v23, v23, v37
	v_sub_f32_e32 v28, v33, v38
	s_delay_alu instid0(VALU_DEP_2) | instskip(NEXT) | instid1(VALU_DEP_2)
	v_add_f32_e32 v21, v21, v23
	v_add_f32_e32 v23, v25, v28
	v_cndmask_b32_e64 v25, 0x7f800000, 0, s8
	s_and_b32 s8, s2, s9
	v_cmp_eq_f32_e64 s9, 1.0, v29
	v_cndmask_b32_e64 v32, 1.0, v15, s8
	v_add_f32_e32 v28, v35, v23
	s_delay_alu instid0(VALU_DEP_1) | instskip(SKIP_1) | instid1(VALU_DEP_2)
	v_mul_f32_e32 v37, v11, v28
	v_dual_add_f32 v36, v42, v24 :: v_dual_sub_f32 v35, v28, v35
	v_fma_f32 v28, v11, v28, -v37
	s_delay_alu instid0(VALU_DEP_2) | instskip(NEXT) | instid1(VALU_DEP_1)
	v_dual_sub_f32 v26, v36, v42 :: v_dual_sub_f32 v23, v23, v35
	v_sub_f32_e32 v24, v24, v26
	s_delay_alu instid0(VALU_DEP_2) | instskip(SKIP_2) | instid1(VALU_DEP_4)
	v_fmac_f32_e32 v28, v11, v23
	v_cndmask_b32_e64 v23, 0x7f800000, 0, s7
	v_cndmask_b32_e64 v26, 0, v13, s10
	v_add_f32_e32 v22, v22, v24
	v_add_f32_e32 v24, v30, v21
	s_delay_alu instid0(VALU_DEP_3) | instskip(NEXT) | instid1(VALU_DEP_3)
	v_bfi_b32 v25, 0x7fffffff, v25, v26
	v_add_f32_e32 v33, v36, v22
	s_delay_alu instid0(VALU_DEP_3) | instskip(SKIP_1) | instid1(VALU_DEP_3)
	v_sub_f32_e32 v30, v24, v30
	v_mul_f32_e32 v34, v10, v24
	v_sub_f32_e32 v36, v33, v36
	s_delay_alu instid0(VALU_DEP_3) | instskip(NEXT) | instid1(VALU_DEP_3)
	v_dual_mul_f32 v38, v12, v33 :: v_dual_sub_f32 v21, v21, v30
	v_fma_f32 v24, v10, v24, -v34
	v_cmp_class_f32_e64 s7, v34, 0x204
	s_delay_alu instid0(VALU_DEP_4) | instskip(NEXT) | instid1(VALU_DEP_4)
	v_sub_f32_e32 v22, v22, v36
	v_fma_f32 v30, v12, v33, -v38
	s_delay_alu instid0(VALU_DEP_4) | instskip(SKIP_1) | instid1(VALU_DEP_3)
	v_fmac_f32_e32 v24, v10, v21
	v_cndmask_b32_e64 v21, v39, v29, s9
	v_dual_add_f32 v29, v37, v28 :: v_dual_fmac_f32 v30, v12, v22
	s_delay_alu instid0(VALU_DEP_3) | instskip(NEXT) | instid1(VALU_DEP_2)
	v_add_f32_e32 v22, v34, v24
	v_add_f32_e32 v33, v38, v30
	s_delay_alu instid0(VALU_DEP_2) | instskip(SKIP_3) | instid1(VALU_DEP_3)
	v_cndmask_b32_e64 v35, v22, v34, s7
	v_cmp_class_f32_e64 s7, v37, 0x204
	v_sub_f32_e32 v22, v22, v34
	v_sub_f32_e32 v34, v29, v37
	v_cndmask_b32_e64 v29, v29, v37, s7
	v_cmp_eq_f32_e64 s7, 0x42b17218, v35
	s_delay_alu instid0(VALU_DEP_4) | instskip(NEXT) | instid1(VALU_DEP_4)
	v_sub_f32_e32 v22, v24, v22
	v_sub_f32_e32 v28, v28, v34
	s_delay_alu instid0(VALU_DEP_3) | instskip(SKIP_1) | instid1(VALU_DEP_1)
	v_cndmask_b32_e64 v36, 0, 0x37000000, s7
	v_cmp_class_f32_e64 s7, v38, 0x204
	v_cndmask_b32_e64 v37, v33, v38, s7
	v_cmp_eq_f32_e64 s7, 0x42b17218, v29
	s_delay_alu instid0(VALU_DEP_4) | instskip(NEXT) | instid1(VALU_DEP_2)
	v_dual_sub_f32 v33, v33, v38 :: v_dual_sub_f32 v38, v35, v36
	v_cndmask_b32_e64 v39, 0, 0x37000000, s7
	s_delay_alu instid0(VALU_DEP_4) | instskip(NEXT) | instid1(VALU_DEP_3)
	v_cmp_eq_f32_e64 s7, 0x42b17218, v37
	v_mul_f32_e32 v24, 0x3fb8aa3b, v38
	s_delay_alu instid0(VALU_DEP_3) | instskip(NEXT) | instid1(VALU_DEP_3)
	v_dual_sub_f32 v30, v30, v33 :: v_dual_sub_f32 v41, v29, v39
	v_cndmask_b32_e64 v40, 0, 0x37000000, s7
	s_delay_alu instid0(VALU_DEP_3) | instskip(SKIP_3) | instid1(VALU_DEP_4)
	v_fma_f32 v33, 0x3fb8aa3b, v38, -v24
	v_rndne_f32_e32 v43, v24
	v_cmp_neq_f32_e64 s7, 0x7f800000, |v35|
	v_mul_f32_e32 v42, 0x3fb8aa3b, v41
	v_dual_sub_f32 v34, v37, v40 :: v_dual_fmac_f32 v33, 0x32a5705f, v38
	s_delay_alu instid0(VALU_DEP_4) | instskip(NEXT) | instid1(VALU_DEP_4)
	v_sub_f32_e32 v24, v24, v43
	v_cndmask_b32_e64 v22, 0, v22, s7
	s_delay_alu instid0(VALU_DEP_4) | instskip(NEXT) | instid1(VALU_DEP_4)
	v_fma_f32 v45, 0x3fb8aa3b, v41, -v42
	v_mul_f32_e32 v44, 0x3fb8aa3b, v34
	v_rndne_f32_e32 v46, v42
	v_add_f32_e32 v24, v24, v33
	v_cmp_neq_f32_e64 s7, 0x7f800000, |v29|
	v_fmac_f32_e32 v45, 0x32a5705f, v41
	v_fma_f32 v47, 0x3fb8aa3b, v34, -v44
	v_rndne_f32_e32 v48, v44
	v_sub_f32_e32 v42, v42, v46
	v_exp_f32_e32 v24, v24
	v_cndmask_b32_e64 v28, 0, v28, s7
	v_fmac_f32_e32 v47, 0x32a5705f, v34
	v_sub_f32_e32 v35, v44, v48
	v_add_f32_e32 v33, v42, v45
	v_cmp_neq_f32_e64 s7, 0x7f800000, |v37|
	v_cvt_i32_f32_e32 v37, v46
	v_add_f32_e32 v22, v36, v22
	v_add_f32_e32 v28, v39, v28
	v_exp_f32_e32 v29, v33
	v_add_f32_e32 v33, v35, v47
	v_cvt_i32_f32_e32 v35, v43
	v_cndmask_b32_e64 v30, 0, v30, s7
	v_cmp_ngt_f32_e64 s7, 0xc2ce8ed0, v38
	s_delay_alu instid0(VALU_DEP_4) | instskip(NEXT) | instid1(VALU_DEP_3)
	v_exp_f32_e32 v33, v33
	v_ldexp_f32 v24, v24, v35
	v_cvt_i32_f32_e32 v35, v48
	v_add_f32_e32 v30, v40, v30
	s_delay_alu instid0(TRANS32_DEP_2) | instskip(NEXT) | instid1(VALU_DEP_4)
	v_ldexp_f32 v29, v29, v37
	v_cndmask_b32_e64 v24, 0, v24, s7
	v_cmp_ngt_f32_e64 s7, 0xc2ce8ed0, v41
	s_delay_alu instid0(TRANS32_DEP_1) | instskip(NEXT) | instid1(VALU_DEP_2)
	v_ldexp_f32 v33, v33, v35
	v_cndmask_b32_e64 v29, 0, v29, s7
	v_cmp_nlt_f32_e64 s7, 0x42b17218, v38
	s_delay_alu instid0(VALU_DEP_1) | instskip(SKIP_1) | instid1(VALU_DEP_2)
	v_cndmask_b32_e64 v24, 0x7f800000, v24, s7
	v_cmp_nlt_f32_e64 s7, 0x42b17218, v41
	v_fma_f32 v22, v24, v22, v24
	s_delay_alu instid0(VALU_DEP_2) | instskip(SKIP_1) | instid1(VALU_DEP_2)
	v_cndmask_b32_e64 v29, 0x7f800000, v29, s7
	v_cmp_ngt_f32_e64 s7, 0xc2ce8ed0, v34
	v_fma_f32 v28, v29, v28, v29
	s_delay_alu instid0(VALU_DEP_2) | instskip(SKIP_1) | instid1(VALU_DEP_1)
	v_cndmask_b32_e64 v33, 0, v33, s7
	v_cmp_nlt_f32_e64 s7, 0x42b17218, v34
	v_cndmask_b32_e64 v33, 0x7f800000, v33, s7
	v_cmp_class_f32_e64 s7, v24, 0x204
	s_delay_alu instid0(VALU_DEP_1) | instskip(SKIP_1) | instid1(VALU_DEP_2)
	v_cndmask_b32_e64 v22, v22, v24, s7
	v_cmp_class_f32_e64 s7, v29, 0x204
	v_bfi_b32 v22, 0x7fffffff, v22, v31
	s_delay_alu instid0(VALU_DEP_2)
	v_cndmask_b32_e64 v24, v28, v29, s7
	v_fma_f32 v28, v33, v30, v33
	v_cmp_class_f32_e64 s7, v33, 0x204
	v_cndmask_b32_e64 v29, 1.0, v18, s6
	v_cndmask_b32_e64 v31, 0x7fc00000, v22, s1
	v_bfi_b32 v24, 0x7fffffff, v24, v32
	v_cmp_gt_f32_e64 s1, 0, v13
	v_cndmask_b32_e64 v28, v28, v33, s7
	v_cndmask_b32_e64 v30, 0, v15, s8
	s_delay_alu instid0(VALU_DEP_4) | instskip(NEXT) | instid1(VALU_DEP_4)
	v_cndmask_b32_e64 v26, 0x7fc00000, v24, s2
	v_cndmask_b32_e64 v22, v22, v31, s1
	v_cmp_gt_f32_e64 s1, 0, v15
	v_bfi_b32 v28, 0x7fffffff, v28, v29
	v_cmp_gt_f32_e64 s2, 0, v12
	v_bfi_b32 v23, 0x7fffffff, v23, v30
	s_delay_alu instid0(VALU_DEP_4) | instskip(SKIP_3) | instid1(VALU_DEP_3)
	v_cndmask_b32_e64 v24, v24, v26, s1
	v_cmp_eq_f32_e64 s1, 0x7f800000, v17
	v_cndmask_b32_e64 v26, 0x7fc00000, v28, s4
	v_cmp_gt_f32_e64 s4, 0, v18
	v_cndmask_b32_e64 v17, v22, v27, s1
	v_cmp_eq_f32_e64 s1, 0x7f800000, v19
	s_delay_alu instid0(VALU_DEP_2) | instskip(NEXT) | instid1(VALU_DEP_2)
	v_cndmask_b32_e32 v17, v17, v25, vcc_lo
	v_cndmask_b32_e64 v19, v24, v21, s1
	v_cmp_eq_f32_e64 s1, 0, v18
	v_cndmask_b32_e64 v21, v28, v26, s4
	v_cmp_eq_f32_e64 s4, 1.0, v14
	v_cndmask_b32_e64 v24, 0, v18, s6
	s_or_b32 vcc_lo, s0, s5
	s_xor_b32 s2, s2, s1
	v_cndmask_b32_e32 v19, v19, v23, vcc_lo
	v_cndmask_b32_e64 v20, v20, v14, s4
	v_cndmask_b32_e64 v22, 0x7f800000, 0, s2
	v_cmp_eq_f32_e64 s2, 0x7f800000, v16
	s_delay_alu instid0(VALU_DEP_1) | instskip(SKIP_1) | instid1(VALU_DEP_4)
	v_cndmask_b32_e64 v16, v21, v20, s2
	v_cmp_eq_f32_e64 s2, 0x7f800000, v14
	v_bfi_b32 v14, 0x7fffffff, v22, v24
	s_delay_alu instid0(VALU_DEP_2) | instskip(NEXT) | instid1(VALU_DEP_1)
	s_or_b32 vcc_lo, s2, s1
	v_cndmask_b32_e32 v14, v16, v14, vcc_lo
	v_cmp_o_f32_e32 vcc_lo, v13, v10
	v_cndmask_b32_e32 v10, 0x7fc00000, v17, vcc_lo
	v_cmp_o_f32_e32 vcc_lo, v15, v11
	s_delay_alu instid0(VALU_DEP_2) | instskip(SKIP_1) | instid1(VALU_DEP_2)
	v_dual_mul_f32 v10, v10, v9 :: v_dual_cndmask_b32 v11, 0x7fc00000, v19
	v_cmp_o_f32_e32 vcc_lo, v18, v12
	v_dual_mul_f32 v11, v11, v9 :: v_dual_cndmask_b32 v12, 0x7fc00000, v14
	v_add_co_u32 v2, vcc_lo, s18, v2
	v_add_co_ci_u32_e32 v3, vcc_lo, s19, v3, vcc_lo
	v_add_co_u32 v0, vcc_lo, s18, v0
	v_add_co_ci_u32_e32 v1, vcc_lo, s19, v1, vcc_lo
	;; [unrolled: 2-line block ×3, first 2 shown]
	v_add_co_u32 v6, vcc_lo, s18, v6
	v_mul_f32_e32 v9, v12, v9
	v_add_co_ci_u32_e32 v7, vcc_lo, s19, v7, vcc_lo
	s_clause 0x2
	global_store_b32 v[2:3], v10, off
	global_store_b32 v[0:1], v11, off
	global_store_b32 v[4:5], v9, off
	s_waitcnt vmcnt(0)
	global_store_b32 v[6:7], v8, off
	s_nop 0
	s_sendmsg sendmsg(MSG_DEALLOC_VGPRS)
	s_endpgm
	.section	.rodata,"a",@progbits
	.p2align	6, 0x0
	.amdhsa_kernel _Z11toneMappingPKfPfffffjjj
		.amdhsa_group_segment_fixed_size 0
		.amdhsa_private_segment_fixed_size 0
		.amdhsa_kernarg_size 304
		.amdhsa_user_sgpr_count 14
		.amdhsa_user_sgpr_dispatch_ptr 0
		.amdhsa_user_sgpr_queue_ptr 0
		.amdhsa_user_sgpr_kernarg_segment_ptr 1
		.amdhsa_user_sgpr_dispatch_id 0
		.amdhsa_user_sgpr_private_segment_size 0
		.amdhsa_wavefront_size32 1
		.amdhsa_uses_dynamic_stack 0
		.amdhsa_enable_private_segment 0
		.amdhsa_system_sgpr_workgroup_id_x 1
		.amdhsa_system_sgpr_workgroup_id_y 1
		.amdhsa_system_sgpr_workgroup_id_z 0
		.amdhsa_system_sgpr_workgroup_info 0
		.amdhsa_system_vgpr_workitem_id 1
		.amdhsa_next_free_vgpr 61
		.amdhsa_next_free_sgpr 24
		.amdhsa_reserve_vcc 1
		.amdhsa_float_round_mode_32 0
		.amdhsa_float_round_mode_16_64 0
		.amdhsa_float_denorm_mode_32 3
		.amdhsa_float_denorm_mode_16_64 3
		.amdhsa_dx10_clamp 1
		.amdhsa_ieee_mode 1
		.amdhsa_fp16_overflow 0
		.amdhsa_workgroup_processor_mode 1
		.amdhsa_memory_ordered 1
		.amdhsa_forward_progress 0
		.amdhsa_shared_vgpr_count 0
		.amdhsa_exception_fp_ieee_invalid_op 0
		.amdhsa_exception_fp_denorm_src 0
		.amdhsa_exception_fp_ieee_div_zero 0
		.amdhsa_exception_fp_ieee_overflow 0
		.amdhsa_exception_fp_ieee_underflow 0
		.amdhsa_exception_fp_ieee_inexact 0
		.amdhsa_exception_int_div_zero 0
	.end_amdhsa_kernel
	.text
.Lfunc_end0:
	.size	_Z11toneMappingPKfPfffffjjj, .Lfunc_end0-_Z11toneMappingPKfPfffffjjj
                                        ; -- End function
	.section	.AMDGPU.csdata,"",@progbits
; Kernel info:
; codeLenInByte = 5748
; NumSgprs: 26
; NumVgprs: 61
; ScratchSize: 0
; MemoryBound: 0
; FloatMode: 240
; IeeeMode: 1
; LDSByteSize: 0 bytes/workgroup (compile time only)
; SGPRBlocks: 3
; VGPRBlocks: 7
; NumSGPRsForWavesPerEU: 26
; NumVGPRsForWavesPerEU: 61
; Occupancy: 16
; WaveLimiterHint : 0
; COMPUTE_PGM_RSRC2:SCRATCH_EN: 0
; COMPUTE_PGM_RSRC2:USER_SGPR: 14
; COMPUTE_PGM_RSRC2:TRAP_HANDLER: 0
; COMPUTE_PGM_RSRC2:TGID_X_EN: 1
; COMPUTE_PGM_RSRC2:TGID_Y_EN: 1
; COMPUTE_PGM_RSRC2:TGID_Z_EN: 0
; COMPUTE_PGM_RSRC2:TIDIG_COMP_CNT: 1
	.text
	.p2alignl 7, 3214868480
	.fill 96, 4, 3214868480
	.type	__hip_cuid_907de8a6dbbbd9cf,@object ; @__hip_cuid_907de8a6dbbbd9cf
	.section	.bss,"aw",@nobits
	.globl	__hip_cuid_907de8a6dbbbd9cf
__hip_cuid_907de8a6dbbbd9cf:
	.byte	0                               ; 0x0
	.size	__hip_cuid_907de8a6dbbbd9cf, 1

	.ident	"AMD clang version 19.0.0git (https://github.com/RadeonOpenCompute/llvm-project roc-6.4.0 25133 c7fe45cf4b819c5991fe208aaa96edf142730f1d)"
	.section	".note.GNU-stack","",@progbits
	.addrsig
	.addrsig_sym __hip_cuid_907de8a6dbbbd9cf
	.amdgpu_metadata
---
amdhsa.kernels:
  - .args:
      - .actual_access:  read_only
        .address_space:  global
        .offset:         0
        .size:           8
        .value_kind:     global_buffer
      - .actual_access:  write_only
        .address_space:  global
        .offset:         8
        .size:           8
        .value_kind:     global_buffer
      - .offset:         16
        .size:           4
        .value_kind:     by_value
      - .offset:         20
        .size:           4
        .value_kind:     by_value
      - .offset:         24
        .size:           4
        .value_kind:     by_value
      - .offset:         28
        .size:           4
        .value_kind:     by_value
      - .offset:         32
        .size:           4
        .value_kind:     by_value
      - .offset:         36
        .size:           4
        .value_kind:     by_value
      - .offset:         40
        .size:           4
        .value_kind:     by_value
      - .offset:         48
        .size:           4
        .value_kind:     hidden_block_count_x
      - .offset:         52
        .size:           4
        .value_kind:     hidden_block_count_y
      - .offset:         56
        .size:           4
        .value_kind:     hidden_block_count_z
      - .offset:         60
        .size:           2
        .value_kind:     hidden_group_size_x
      - .offset:         62
        .size:           2
        .value_kind:     hidden_group_size_y
      - .offset:         64
        .size:           2
        .value_kind:     hidden_group_size_z
      - .offset:         66
        .size:           2
        .value_kind:     hidden_remainder_x
      - .offset:         68
        .size:           2
        .value_kind:     hidden_remainder_y
      - .offset:         70
        .size:           2
        .value_kind:     hidden_remainder_z
      - .offset:         88
        .size:           8
        .value_kind:     hidden_global_offset_x
      - .offset:         96
        .size:           8
        .value_kind:     hidden_global_offset_y
      - .offset:         104
        .size:           8
        .value_kind:     hidden_global_offset_z
      - .offset:         112
        .size:           2
        .value_kind:     hidden_grid_dims
    .group_segment_fixed_size: 0
    .kernarg_segment_align: 8
    .kernarg_segment_size: 304
    .language:       OpenCL C
    .language_version:
      - 2
      - 0
    .max_flat_workgroup_size: 1024
    .name:           _Z11toneMappingPKfPfffffjjj
    .private_segment_fixed_size: 0
    .sgpr_count:     26
    .sgpr_spill_count: 0
    .symbol:         _Z11toneMappingPKfPfffffjjj.kd
    .uniform_work_group_size: 1
    .uses_dynamic_stack: false
    .vgpr_count:     61
    .vgpr_spill_count: 0
    .wavefront_size: 32
    .workgroup_processor_mode: 1
amdhsa.target:   amdgcn-amd-amdhsa--gfx1100
amdhsa.version:
  - 1
  - 2
...

	.end_amdgpu_metadata
